;; amdgpu-corpus repo=ROCm/rocFFT kind=compiled arch=gfx1100 opt=O3
	.text
	.amdgcn_target "amdgcn-amd-amdhsa--gfx1100"
	.amdhsa_code_object_version 6
	.protected	fft_rtc_back_len104_factors_13_8_wgs_64_tpt_8_halfLds_sp_ip_CI_sbrr_dirReg ; -- Begin function fft_rtc_back_len104_factors_13_8_wgs_64_tpt_8_halfLds_sp_ip_CI_sbrr_dirReg
	.globl	fft_rtc_back_len104_factors_13_8_wgs_64_tpt_8_halfLds_sp_ip_CI_sbrr_dirReg
	.p2align	8
	.type	fft_rtc_back_len104_factors_13_8_wgs_64_tpt_8_halfLds_sp_ip_CI_sbrr_dirReg,@function
fft_rtc_back_len104_factors_13_8_wgs_64_tpt_8_halfLds_sp_ip_CI_sbrr_dirReg: ; @fft_rtc_back_len104_factors_13_8_wgs_64_tpt_8_halfLds_sp_ip_CI_sbrr_dirReg
; %bb.0:
	s_clause 0x2
	s_load_b64 s[12:13], s[0:1], 0x18
	s_load_b128 s[4:7], s[0:1], 0x0
	s_load_b64 s[10:11], s[0:1], 0x50
	v_lshrrev_b32_e32 v12, 3, v0
	v_mov_b32_e32 v1, 0
	v_mov_b32_e32 v3, 0
	;; [unrolled: 1-line block ×3, first 2 shown]
	s_delay_alu instid0(VALU_DEP_4) | instskip(NEXT) | instid1(VALU_DEP_4)
	v_lshl_or_b32 v5, s15, 3, v12
	v_mov_b32_e32 v6, v1
	s_waitcnt lgkmcnt(0)
	s_load_b64 s[8:9], s[12:13], 0x0
	v_cmp_lt_u64_e64 s2, s[6:7], 2
	s_delay_alu instid0(VALU_DEP_1)
	s_and_b32 vcc_lo, exec_lo, s2
	s_cbranch_vccnz .LBB0_8
; %bb.1:
	s_load_b64 s[2:3], s[0:1], 0x10
	v_mov_b32_e32 v3, 0
	s_add_u32 s14, s12, 8
	v_mov_b32_e32 v4, 0
	s_addc_u32 s15, s13, 0
	s_mov_b64 s[18:19], 1
	s_waitcnt lgkmcnt(0)
	s_add_u32 s16, s2, 8
	s_addc_u32 s17, s3, 0
.LBB0_2:                                ; =>This Inner Loop Header: Depth=1
	s_load_b64 s[20:21], s[16:17], 0x0
                                        ; implicit-def: $vgpr7_vgpr8
	s_mov_b32 s2, exec_lo
	s_waitcnt lgkmcnt(0)
	v_or_b32_e32 v2, s21, v6
	s_delay_alu instid0(VALU_DEP_1)
	v_cmpx_ne_u64_e32 0, v[1:2]
	s_xor_b32 s3, exec_lo, s2
	s_cbranch_execz .LBB0_4
; %bb.3:                                ;   in Loop: Header=BB0_2 Depth=1
	v_cvt_f32_u32_e32 v2, s20
	v_cvt_f32_u32_e32 v7, s21
	s_sub_u32 s2, 0, s20
	s_subb_u32 s22, 0, s21
	s_delay_alu instid0(VALU_DEP_1) | instskip(NEXT) | instid1(VALU_DEP_1)
	v_fmac_f32_e32 v2, 0x4f800000, v7
	v_rcp_f32_e32 v2, v2
	s_waitcnt_depctr 0xfff
	v_mul_f32_e32 v2, 0x5f7ffffc, v2
	s_delay_alu instid0(VALU_DEP_1) | instskip(NEXT) | instid1(VALU_DEP_1)
	v_mul_f32_e32 v7, 0x2f800000, v2
	v_trunc_f32_e32 v7, v7
	s_delay_alu instid0(VALU_DEP_1) | instskip(SKIP_1) | instid1(VALU_DEP_2)
	v_fmac_f32_e32 v2, 0xcf800000, v7
	v_cvt_u32_f32_e32 v7, v7
	v_cvt_u32_f32_e32 v2, v2
	s_delay_alu instid0(VALU_DEP_2) | instskip(NEXT) | instid1(VALU_DEP_2)
	v_mul_lo_u32 v8, s2, v7
	v_mul_hi_u32 v9, s2, v2
	v_mul_lo_u32 v10, s22, v2
	s_delay_alu instid0(VALU_DEP_2) | instskip(SKIP_1) | instid1(VALU_DEP_2)
	v_add_nc_u32_e32 v8, v9, v8
	v_mul_lo_u32 v9, s2, v2
	v_add_nc_u32_e32 v8, v8, v10
	s_delay_alu instid0(VALU_DEP_2) | instskip(NEXT) | instid1(VALU_DEP_2)
	v_mul_hi_u32 v10, v2, v9
	v_mul_lo_u32 v11, v2, v8
	v_mul_hi_u32 v13, v2, v8
	v_mul_hi_u32 v14, v7, v9
	v_mul_lo_u32 v9, v7, v9
	v_mul_hi_u32 v15, v7, v8
	v_mul_lo_u32 v8, v7, v8
	v_add_co_u32 v10, vcc_lo, v10, v11
	v_add_co_ci_u32_e32 v11, vcc_lo, 0, v13, vcc_lo
	s_delay_alu instid0(VALU_DEP_2) | instskip(NEXT) | instid1(VALU_DEP_2)
	v_add_co_u32 v9, vcc_lo, v10, v9
	v_add_co_ci_u32_e32 v9, vcc_lo, v11, v14, vcc_lo
	v_add_co_ci_u32_e32 v10, vcc_lo, 0, v15, vcc_lo
	s_delay_alu instid0(VALU_DEP_2) | instskip(NEXT) | instid1(VALU_DEP_2)
	v_add_co_u32 v8, vcc_lo, v9, v8
	v_add_co_ci_u32_e32 v9, vcc_lo, 0, v10, vcc_lo
	s_delay_alu instid0(VALU_DEP_2) | instskip(NEXT) | instid1(VALU_DEP_2)
	v_add_co_u32 v2, vcc_lo, v2, v8
	v_add_co_ci_u32_e32 v7, vcc_lo, v7, v9, vcc_lo
	s_delay_alu instid0(VALU_DEP_2) | instskip(SKIP_1) | instid1(VALU_DEP_3)
	v_mul_hi_u32 v8, s2, v2
	v_mul_lo_u32 v10, s22, v2
	v_mul_lo_u32 v9, s2, v7
	s_delay_alu instid0(VALU_DEP_1) | instskip(SKIP_1) | instid1(VALU_DEP_2)
	v_add_nc_u32_e32 v8, v8, v9
	v_mul_lo_u32 v9, s2, v2
	v_add_nc_u32_e32 v8, v8, v10
	s_delay_alu instid0(VALU_DEP_2) | instskip(NEXT) | instid1(VALU_DEP_2)
	v_mul_hi_u32 v10, v2, v9
	v_mul_lo_u32 v11, v2, v8
	v_mul_hi_u32 v13, v2, v8
	v_mul_hi_u32 v14, v7, v9
	v_mul_lo_u32 v9, v7, v9
	v_mul_hi_u32 v15, v7, v8
	v_mul_lo_u32 v8, v7, v8
	v_add_co_u32 v10, vcc_lo, v10, v11
	v_add_co_ci_u32_e32 v11, vcc_lo, 0, v13, vcc_lo
	s_delay_alu instid0(VALU_DEP_2) | instskip(NEXT) | instid1(VALU_DEP_2)
	v_add_co_u32 v9, vcc_lo, v10, v9
	v_add_co_ci_u32_e32 v9, vcc_lo, v11, v14, vcc_lo
	v_add_co_ci_u32_e32 v10, vcc_lo, 0, v15, vcc_lo
	s_delay_alu instid0(VALU_DEP_2) | instskip(NEXT) | instid1(VALU_DEP_2)
	v_add_co_u32 v8, vcc_lo, v9, v8
	v_add_co_ci_u32_e32 v9, vcc_lo, 0, v10, vcc_lo
	s_delay_alu instid0(VALU_DEP_2) | instskip(NEXT) | instid1(VALU_DEP_2)
	v_add_co_u32 v2, vcc_lo, v2, v8
	v_add_co_ci_u32_e32 v11, vcc_lo, v7, v9, vcc_lo
	s_delay_alu instid0(VALU_DEP_2) | instskip(SKIP_1) | instid1(VALU_DEP_3)
	v_mul_hi_u32 v15, v5, v2
	v_mad_u64_u32 v[9:10], null, v6, v2, 0
	v_mad_u64_u32 v[7:8], null, v5, v11, 0
	;; [unrolled: 1-line block ×3, first 2 shown]
	s_delay_alu instid0(VALU_DEP_2) | instskip(NEXT) | instid1(VALU_DEP_3)
	v_add_co_u32 v2, vcc_lo, v15, v7
	v_add_co_ci_u32_e32 v7, vcc_lo, 0, v8, vcc_lo
	s_delay_alu instid0(VALU_DEP_2) | instskip(NEXT) | instid1(VALU_DEP_2)
	v_add_co_u32 v2, vcc_lo, v2, v9
	v_add_co_ci_u32_e32 v2, vcc_lo, v7, v10, vcc_lo
	v_add_co_ci_u32_e32 v7, vcc_lo, 0, v14, vcc_lo
	s_delay_alu instid0(VALU_DEP_2) | instskip(NEXT) | instid1(VALU_DEP_2)
	v_add_co_u32 v2, vcc_lo, v2, v13
	v_add_co_ci_u32_e32 v9, vcc_lo, 0, v7, vcc_lo
	s_delay_alu instid0(VALU_DEP_2) | instskip(SKIP_1) | instid1(VALU_DEP_3)
	v_mul_lo_u32 v10, s21, v2
	v_mad_u64_u32 v[7:8], null, s20, v2, 0
	v_mul_lo_u32 v11, s20, v9
	s_delay_alu instid0(VALU_DEP_2) | instskip(NEXT) | instid1(VALU_DEP_2)
	v_sub_co_u32 v7, vcc_lo, v5, v7
	v_add3_u32 v8, v8, v11, v10
	s_delay_alu instid0(VALU_DEP_1) | instskip(NEXT) | instid1(VALU_DEP_1)
	v_sub_nc_u32_e32 v10, v6, v8
	v_subrev_co_ci_u32_e64 v10, s2, s21, v10, vcc_lo
	v_add_co_u32 v11, s2, v2, 2
	s_delay_alu instid0(VALU_DEP_1) | instskip(SKIP_3) | instid1(VALU_DEP_3)
	v_add_co_ci_u32_e64 v13, s2, 0, v9, s2
	v_sub_co_u32 v14, s2, v7, s20
	v_sub_co_ci_u32_e32 v8, vcc_lo, v6, v8, vcc_lo
	v_subrev_co_ci_u32_e64 v10, s2, 0, v10, s2
	v_cmp_le_u32_e32 vcc_lo, s20, v14
	s_delay_alu instid0(VALU_DEP_3) | instskip(SKIP_1) | instid1(VALU_DEP_4)
	v_cmp_eq_u32_e64 s2, s21, v8
	v_cndmask_b32_e64 v14, 0, -1, vcc_lo
	v_cmp_le_u32_e32 vcc_lo, s21, v10
	v_cndmask_b32_e64 v15, 0, -1, vcc_lo
	v_cmp_le_u32_e32 vcc_lo, s20, v7
	;; [unrolled: 2-line block ×3, first 2 shown]
	v_cndmask_b32_e64 v16, 0, -1, vcc_lo
	v_cmp_eq_u32_e32 vcc_lo, s21, v10
	s_delay_alu instid0(VALU_DEP_2) | instskip(SKIP_3) | instid1(VALU_DEP_3)
	v_cndmask_b32_e64 v7, v16, v7, s2
	v_cndmask_b32_e32 v10, v15, v14, vcc_lo
	v_add_co_u32 v14, vcc_lo, v2, 1
	v_add_co_ci_u32_e32 v15, vcc_lo, 0, v9, vcc_lo
	v_cmp_ne_u32_e32 vcc_lo, 0, v10
	s_delay_alu instid0(VALU_DEP_2) | instskip(NEXT) | instid1(VALU_DEP_4)
	v_cndmask_b32_e32 v8, v15, v13, vcc_lo
	v_cndmask_b32_e32 v10, v14, v11, vcc_lo
	v_cmp_ne_u32_e32 vcc_lo, 0, v7
	s_delay_alu instid0(VALU_DEP_2)
	v_dual_cndmask_b32 v7, v2, v10 :: v_dual_cndmask_b32 v8, v9, v8
.LBB0_4:                                ;   in Loop: Header=BB0_2 Depth=1
	s_and_not1_saveexec_b32 s2, s3
	s_cbranch_execz .LBB0_6
; %bb.5:                                ;   in Loop: Header=BB0_2 Depth=1
	v_cvt_f32_u32_e32 v2, s20
	s_sub_i32 s3, 0, s20
	s_delay_alu instid0(VALU_DEP_1) | instskip(SKIP_2) | instid1(VALU_DEP_1)
	v_rcp_iflag_f32_e32 v2, v2
	s_waitcnt_depctr 0xfff
	v_mul_f32_e32 v2, 0x4f7ffffe, v2
	v_cvt_u32_f32_e32 v2, v2
	s_delay_alu instid0(VALU_DEP_1) | instskip(NEXT) | instid1(VALU_DEP_1)
	v_mul_lo_u32 v7, s3, v2
	v_mul_hi_u32 v7, v2, v7
	s_delay_alu instid0(VALU_DEP_1) | instskip(NEXT) | instid1(VALU_DEP_1)
	v_add_nc_u32_e32 v2, v2, v7
	v_mul_hi_u32 v2, v5, v2
	s_delay_alu instid0(VALU_DEP_1) | instskip(SKIP_1) | instid1(VALU_DEP_2)
	v_mul_lo_u32 v7, v2, s20
	v_add_nc_u32_e32 v8, 1, v2
	v_sub_nc_u32_e32 v7, v5, v7
	s_delay_alu instid0(VALU_DEP_1) | instskip(SKIP_1) | instid1(VALU_DEP_2)
	v_subrev_nc_u32_e32 v9, s20, v7
	v_cmp_le_u32_e32 vcc_lo, s20, v7
	v_dual_cndmask_b32 v7, v7, v9 :: v_dual_cndmask_b32 v2, v2, v8
	s_delay_alu instid0(VALU_DEP_1) | instskip(NEXT) | instid1(VALU_DEP_2)
	v_cmp_le_u32_e32 vcc_lo, s20, v7
	v_add_nc_u32_e32 v8, 1, v2
	s_delay_alu instid0(VALU_DEP_1)
	v_dual_cndmask_b32 v7, v2, v8 :: v_dual_mov_b32 v8, v1
.LBB0_6:                                ;   in Loop: Header=BB0_2 Depth=1
	s_or_b32 exec_lo, exec_lo, s2
	s_load_b64 s[2:3], s[14:15], 0x0
	s_delay_alu instid0(VALU_DEP_1) | instskip(NEXT) | instid1(VALU_DEP_2)
	v_mul_lo_u32 v2, v8, s20
	v_mul_lo_u32 v11, v7, s21
	v_mad_u64_u32 v[9:10], null, v7, s20, 0
	s_add_u32 s18, s18, 1
	s_addc_u32 s19, s19, 0
	s_add_u32 s14, s14, 8
	s_addc_u32 s15, s15, 0
	;; [unrolled: 2-line block ×3, first 2 shown]
	s_delay_alu instid0(VALU_DEP_1) | instskip(SKIP_1) | instid1(VALU_DEP_2)
	v_add3_u32 v2, v10, v11, v2
	v_sub_co_u32 v9, vcc_lo, v5, v9
	v_sub_co_ci_u32_e32 v2, vcc_lo, v6, v2, vcc_lo
	s_waitcnt lgkmcnt(0)
	s_delay_alu instid0(VALU_DEP_2) | instskip(NEXT) | instid1(VALU_DEP_2)
	v_mul_lo_u32 v10, s3, v9
	v_mul_lo_u32 v2, s2, v2
	v_mad_u64_u32 v[5:6], null, s2, v9, v[3:4]
	v_cmp_ge_u64_e64 s2, s[18:19], s[6:7]
	s_delay_alu instid0(VALU_DEP_1) | instskip(NEXT) | instid1(VALU_DEP_2)
	s_and_b32 vcc_lo, exec_lo, s2
	v_add3_u32 v4, v10, v6, v2
	s_delay_alu instid0(VALU_DEP_3)
	v_mov_b32_e32 v3, v5
	s_cbranch_vccnz .LBB0_9
; %bb.7:                                ;   in Loop: Header=BB0_2 Depth=1
	v_dual_mov_b32 v5, v7 :: v_dual_mov_b32 v6, v8
	s_branch .LBB0_2
.LBB0_8:
	v_dual_mov_b32 v8, v6 :: v_dual_mov_b32 v7, v5
.LBB0_9:
	s_lshl_b64 s[2:3], s[6:7], 3
	v_and_b32_e32 v41, 7, v0
	s_add_u32 s2, s12, s2
	s_addc_u32 s3, s13, s3
                                        ; implicit-def: $vgpr42
	s_load_b64 s[2:3], s[2:3], 0x0
	s_load_b64 s[0:1], s[0:1], 0x20
	v_or_b32_e32 v40, 8, v41
	s_waitcnt lgkmcnt(0)
	v_mul_lo_u32 v5, s2, v8
	v_mul_lo_u32 v6, s3, v7
	v_mad_u64_u32 v[1:2], null, s2, v7, v[3:4]
	v_cmp_gt_u64_e32 vcc_lo, s[0:1], v[7:8]
	v_cmp_le_u64_e64 s0, s[0:1], v[7:8]
                                        ; implicit-def: $sgpr2_sgpr3
	s_delay_alu instid0(VALU_DEP_3) | instskip(NEXT) | instid1(VALU_DEP_2)
	v_add3_u32 v2, v6, v2, v5
	s_and_saveexec_b32 s1, s0
	s_delay_alu instid0(SALU_CYCLE_1)
	s_xor_b32 s0, exec_lo, s1
; %bb.10:
	v_or_b32_e32 v42, 8, v41
	s_mov_b64 s[2:3], 0
; %bb.11:
	s_or_saveexec_b32 s1, s0
	v_lshlrev_b64 v[0:1], 3, v[1:2]
	v_dual_mov_b32 v23, s3 :: v_dual_mov_b32 v22, s2
                                        ; implicit-def: $vgpr33
                                        ; implicit-def: $vgpr31
                                        ; implicit-def: $vgpr21
                                        ; implicit-def: $vgpr27
                                        ; implicit-def: $vgpr19
                                        ; implicit-def: $vgpr9
                                        ; implicit-def: $vgpr25
                                        ; implicit-def: $vgpr29
                                        ; implicit-def: $vgpr35
                                        ; implicit-def: $vgpr39
                                        ; implicit-def: $vgpr37
                                        ; implicit-def: $vgpr11
	s_xor_b32 exec_lo, exec_lo, s1
	s_cbranch_execz .LBB0_13
; %bb.12:
	v_or_b32_e32 v15, 16, v41
	v_mad_u64_u32 v[2:3], null, s8, v41, 0
	v_mad_u64_u32 v[4:5], null, s8, v40, 0
	s_delay_alu instid0(VALU_DEP_3)
	v_mad_u64_u32 v[6:7], null, s8, v15, 0
	v_or_b32_e32 v16, 24, v41
	v_or_b32_e32 v17, 32, v41
	v_add_co_u32 v36, s0, s10, v0
	v_mad_u64_u32 v[8:9], null, s9, v41, v[3:4]
	v_mad_u64_u32 v[9:10], null, s9, v40, v[5:6]
	;; [unrolled: 1-line block ×3, first 2 shown]
	v_add_co_ci_u32_e64 v37, s0, s11, v1, s0
	s_delay_alu instid0(VALU_DEP_4)
	v_mov_b32_e32 v3, v8
	v_or_b32_e32 v20, 40, v41
	v_mov_b32_e32 v5, v9
	v_or_b32_e32 v24, 48, v41
	v_mov_b32_e32 v8, v11
	v_lshlrev_b64 v[2:3], 3, v[2:3]
	v_or_b32_e32 v26, 0x50, v41
	v_lshlrev_b64 v[4:5], 3, v[4:5]
	v_or_b32_e32 v38, 0x58, v41
	v_mad_u64_u32 v[13:14], null, s9, v15, v[7:8]
	v_mad_u64_u32 v[14:15], null, s9, v16, v[8:9]
	;; [unrolled: 1-line block ×3, first 2 shown]
	v_add_co_u32 v2, s0, v36, v2
	s_delay_alu instid0(VALU_DEP_4) | instskip(SKIP_3) | instid1(VALU_DEP_4)
	v_mov_b32_e32 v7, v13
	v_add_co_ci_u32_e64 v3, s0, v37, v3, s0
	v_mov_b32_e32 v11, v14
	v_add_co_u32 v4, s0, v36, v4
	v_lshlrev_b64 v[6:7], 3, v[6:7]
	v_add_co_ci_u32_e64 v5, s0, v37, v5, s0
	s_delay_alu instid0(VALU_DEP_4) | instskip(SKIP_3) | instid1(VALU_DEP_4)
	v_lshlrev_b64 v[10:11], 3, v[10:11]
	v_or_b32_e32 v39, 0x60, v41
	v_mad_u64_u32 v[28:29], null, s8, v38, 0
	v_add_co_u32 v6, s0, v36, v6
	v_mad_u64_u32 v[13:14], null, s9, v17, v[9:10]
	v_mad_u64_u32 v[14:15], null, s8, v20, 0
	;; [unrolled: 1-line block ×3, first 2 shown]
	v_add_co_ci_u32_e64 v7, s0, v37, v7, s0
	s_delay_alu instid0(VALU_DEP_4) | instskip(SKIP_2) | instid1(VALU_DEP_1)
	v_mov_b32_e32 v9, v13
	v_or_b32_e32 v13, 56, v41
	v_add_co_u32 v10, s0, v36, v10
	v_add_co_ci_u32_e64 v11, s0, v37, v11, s0
	v_mad_u64_u32 v[18:19], null, s9, v20, v[15:16]
	s_clause 0x3
	global_load_b64 v[22:23], v[2:3], off
	global_load_b64 v[32:33], v[4:5], off
	;; [unrolled: 1-line block ×4, first 2 shown]
	v_mad_u64_u32 v[5:6], null, s8, v13, 0
	v_mov_b32_e32 v4, v17
	v_lshlrev_b64 v[2:3], 3, v[8:9]
	v_or_b32_e32 v11, 64, v41
	v_mov_b32_e32 v15, v18
	v_or_b32_e32 v19, 0x48, v41
	v_mad_u64_u32 v[34:35], null, s8, v39, 0
	v_mad_u64_u32 v[7:8], null, s9, v24, v[4:5]
	v_mov_b32_e32 v4, v6
	v_lshlrev_b64 v[8:9], 3, v[14:15]
	v_mad_u64_u32 v[24:25], null, s8, v26, 0
	v_add_co_u32 v2, s0, v36, v2
	v_mov_b32_e32 v17, v7
	v_mad_u64_u32 v[6:7], null, s9, v13, v[4:5]
	v_mad_u64_u32 v[13:14], null, s8, v11, 0
	v_add_co_ci_u32_e64 v3, s0, v37, v3, s0
	v_add_co_u32 v7, s0, v36, v8
	s_delay_alu instid0(VALU_DEP_1)
	v_add_co_ci_u32_e64 v8, s0, v37, v9, s0
	v_lshlrev_b64 v[9:10], 3, v[16:17]
	v_lshlrev_b64 v[5:6], 3, v[5:6]
	v_mov_b32_e32 v4, v14
	v_mad_u64_u32 v[15:16], null, s8, v19, 0
	v_mov_b32_e32 v42, v40
	v_add_co_u32 v9, s0, v36, v9
	s_delay_alu instid0(VALU_DEP_4) | instskip(SKIP_3) | instid1(VALU_DEP_1)
	v_mad_u64_u32 v[17:18], null, s9, v11, v[4:5]
	v_add_co_ci_u32_e64 v10, s0, v37, v10, s0
	v_mov_b32_e32 v4, v16
	v_add_co_u32 v5, s0, v36, v5
	v_add_co_ci_u32_e64 v6, s0, v37, v6, s0
	v_mov_b32_e32 v14, v17
	s_delay_alu instid0(VALU_DEP_3) | instskip(SKIP_1) | instid1(VALU_DEP_1)
	v_mad_u64_u32 v[16:17], null, s9, v19, v[4:5]
	v_mov_b32_e32 v4, v25
	v_mad_u64_u32 v[17:18], null, s9, v26, v[4:5]
	s_clause 0x3
	global_load_b64 v[26:27], v[2:3], off
	global_load_b64 v[18:19], v[7:8], off
	;; [unrolled: 1-line block ×4, first 2 shown]
	v_lshlrev_b64 v[3:4], 3, v[13:14]
	v_mov_b32_e32 v2, v29
	v_mov_b32_e32 v25, v17
	s_delay_alu instid0(VALU_DEP_2) | instskip(SKIP_4) | instid1(VALU_DEP_3)
	v_mad_u64_u32 v[5:6], null, s9, v38, v[2:3]
	v_mov_b32_e32 v2, v35
	v_add_co_u32 v3, s0, v36, v3
	v_lshlrev_b64 v[6:7], 3, v[15:16]
	v_add_co_ci_u32_e64 v4, s0, v37, v4, s0
	v_mad_u64_u32 v[13:14], null, s9, v39, v[2:3]
	v_mov_b32_e32 v29, v5
	v_lshlrev_b64 v[14:15], 3, v[24:25]
	v_add_co_u32 v5, s0, v36, v6
	s_delay_alu instid0(VALU_DEP_1) | instskip(SKIP_3) | instid1(VALU_DEP_1)
	v_add_co_ci_u32_e64 v6, s0, v37, v7, s0
	v_mov_b32_e32 v35, v13
	v_lshlrev_b64 v[16:17], 3, v[28:29]
	v_add_co_u32 v13, s0, v36, v14
	v_add_co_ci_u32_e64 v14, s0, v37, v15, s0
	s_delay_alu instid0(VALU_DEP_4) | instskip(NEXT) | instid1(VALU_DEP_4)
	v_lshlrev_b64 v[24:25], 3, v[34:35]
	v_add_co_u32 v15, s0, v36, v16
	s_delay_alu instid0(VALU_DEP_1) | instskip(NEXT) | instid1(VALU_DEP_3)
	v_add_co_ci_u32_e64 v16, s0, v37, v17, s0
	v_add_co_u32 v36, s0, v36, v24
	s_delay_alu instid0(VALU_DEP_1)
	v_add_co_ci_u32_e64 v37, s0, v37, v25, s0
	s_clause 0x4
	global_load_b64 v[24:25], v[3:4], off
	global_load_b64 v[28:29], v[5:6], off
	;; [unrolled: 1-line block ×5, first 2 shown]
.LBB0_13:
	s_or_b32 exec_lo, exec_lo, s1
	s_waitcnt vmcnt(0)
	v_dual_add_f32 v2, v32, v22 :: v_dual_sub_f32 v3, v33, v37
	v_dual_add_f32 v4, v32, v36 :: v_dual_add_f32 v5, v30, v38
	v_mul_u32_u24_e32 v6, 0x68, v12
	s_delay_alu instid0(VALU_DEP_3) | instskip(NEXT) | instid1(VALU_DEP_4)
	v_dual_add_f32 v2, v30, v2 :: v_dual_sub_f32 v7, v31, v39
	v_mul_f32_e32 v13, 0xbf52af12, v3
	v_mul_f32_e32 v12, 0xbeedf032, v3
	v_cmp_gt_u32_e64 s0, 5, v41
	s_delay_alu instid0(VALU_DEP_4) | instskip(NEXT) | instid1(VALU_DEP_4)
	v_dual_add_f32 v2, v20, v2 :: v_dual_mul_f32 v15, 0xbf6f5d39, v3
	v_fmamk_f32 v46, v4, 0x3f116cb1, v13
	v_fma_f32 v13, 0x3f116cb1, v4, -v13
	v_mul_f32_e32 v14, 0xbf7e222b, v3
	s_delay_alu instid0(VALU_DEP_4) | instskip(NEXT) | instid1(VALU_DEP_3)
	v_add_f32_e32 v2, v26, v2
	v_add_f32_e32 v13, v13, v22
	s_delay_alu instid0(VALU_DEP_3) | instskip(SKIP_1) | instid1(VALU_DEP_4)
	v_fmamk_f32 v47, v4, 0x3df6dbef, v14
	v_fma_f32 v14, 0x3df6dbef, v4, -v14
	v_dual_add_f32 v2, v18, v2 :: v_dual_mul_f32 v17, 0xbf52af12, v7
	s_delay_alu instid0(VALU_DEP_2) | instskip(NEXT) | instid1(VALU_DEP_2)
	v_add_f32_e32 v14, v14, v22
	v_add_f32_e32 v2, v8, v2
	v_dual_mul_f32 v16, 0xbf29c268, v3 :: v_dual_add_f32 v47, v47, v22
	v_mul_f32_e32 v3, 0xbe750f2a, v3
	s_delay_alu instid0(VALU_DEP_3) | instskip(NEXT) | instid1(VALU_DEP_2)
	v_dual_mul_f32 v43, 0xbf6f5d39, v7 :: v_dual_add_f32 v2, v10, v2
	v_fmamk_f32 v50, v4, 0xbf788fa5, v3
	s_delay_alu instid0(VALU_DEP_2)
	v_dual_fmamk_f32 v51, v5, 0xbeb58ec6, v43 :: v_dual_add_f32 v2, v24, v2
	v_fma_f32 v3, 0xbf788fa5, v4, -v3
	v_fmamk_f32 v48, v4, 0xbeb58ec6, v15
	v_fma_f32 v15, 0xbeb58ec6, v4, -v15
	v_mul_f32_e32 v44, 0xbe750f2a, v7
	v_add_f32_e32 v2, v28, v2
	v_fmamk_f32 v49, v4, 0xbf3f9e67, v16
	v_fma_f32 v16, 0xbf3f9e67, v4, -v16
	v_fma_f32 v43, 0xbeb58ec6, v5, -v43
	v_add_f32_e32 v3, v3, v22
	v_add_f32_e32 v2, v34, v2
	;; [unrolled: 1-line block ×3, first 2 shown]
	v_dual_fmamk_f32 v45, v4, 0x3f62ad3f, v12 :: v_dual_add_f32 v46, v46, v22
	v_add_f32_e32 v48, v48, v22
	s_delay_alu instid0(VALU_DEP_4) | instskip(SKIP_1) | instid1(VALU_DEP_4)
	v_add_f32_e32 v2, v38, v2
	v_add_f32_e32 v15, v15, v22
	;; [unrolled: 1-line block ×3, first 2 shown]
	v_fma_f32 v12, 0x3f62ad3f, v4, -v12
	v_fmamk_f32 v4, v5, 0x3f116cb1, v17
	v_fma_f32 v17, 0x3f116cb1, v5, -v17
	v_dual_add_f32 v16, v16, v22 :: v_dual_add_f32 v13, v43, v13
	s_delay_alu instid0(VALU_DEP_4) | instskip(SKIP_1) | instid1(VALU_DEP_2)
	v_add_f32_e32 v12, v12, v22
	v_fma_f32 v43, 0xbf788fa5, v5, -v44
	v_dual_add_f32 v12, v17, v12 :: v_dual_add_f32 v17, v36, v2
	v_dual_add_f32 v4, v4, v45 :: v_dual_fmamk_f32 v45, v5, 0xbf788fa5, v44
	v_add_f32_e32 v50, v50, v22
	v_mul_f32_e32 v2, 0x3f29c268, v7
	s_delay_alu instid0(VALU_DEP_3) | instskip(NEXT) | instid1(VALU_DEP_2)
	v_dual_add_f32 v22, v51, v46 :: v_dual_add_f32 v45, v45, v47
	v_dual_add_f32 v47, v20, v34 :: v_dual_fmamk_f32 v44, v5, 0xbf3f9e67, v2
	v_fma_f32 v2, 0xbf3f9e67, v5, -v2
	v_mul_f32_e32 v46, 0x3f7e222b, v7
	v_mul_f32_e32 v7, 0x3eedf032, v7
	s_delay_alu instid0(VALU_DEP_3) | instskip(SKIP_1) | instid1(VALU_DEP_4)
	v_add_f32_e32 v2, v2, v15
	v_dual_sub_f32 v15, v21, v35 :: v_dual_add_f32 v14, v43, v14
	v_dual_add_f32 v43, v44, v48 :: v_dual_fmamk_f32 v44, v5, 0x3df6dbef, v46
	v_fma_f32 v46, 0x3df6dbef, v5, -v46
	s_delay_alu instid0(VALU_DEP_3) | instskip(NEXT) | instid1(VALU_DEP_3)
	v_mul_f32_e32 v48, 0xbf7e222b, v15
	v_dual_add_f32 v44, v44, v49 :: v_dual_fmamk_f32 v49, v5, 0x3f62ad3f, v7
	v_fma_f32 v5, 0x3f62ad3f, v5, -v7
	s_delay_alu instid0(VALU_DEP_3) | instskip(NEXT) | instid1(VALU_DEP_3)
	v_dual_add_f32 v7, v46, v16 :: v_dual_fmamk_f32 v16, v47, 0x3df6dbef, v48
	v_dual_mul_f32 v46, 0xbe750f2a, v15 :: v_dual_add_f32 v49, v49, v50
	s_delay_alu instid0(VALU_DEP_3) | instskip(SKIP_1) | instid1(VALU_DEP_4)
	v_add_f32_e32 v3, v5, v3
	v_fma_f32 v5, 0x3df6dbef, v47, -v48
	v_add_f32_e32 v4, v16, v4
	s_delay_alu instid0(VALU_DEP_4) | instskip(SKIP_1) | instid1(VALU_DEP_4)
	v_fmamk_f32 v16, v47, 0xbf788fa5, v46
	v_fma_f32 v46, 0xbf788fa5, v47, -v46
	v_dual_add_f32 v5, v5, v12 :: v_dual_mul_f32 v12, 0x3eedf032, v15
	s_delay_alu instid0(VALU_DEP_2) | instskip(SKIP_1) | instid1(VALU_DEP_1)
	v_dual_add_f32 v16, v16, v22 :: v_dual_add_f32 v13, v46, v13
	v_mul_f32_e32 v48, 0x3f6f5d39, v15
	v_fmamk_f32 v22, v47, 0xbeb58ec6, v48
	v_fma_f32 v46, 0xbeb58ec6, v47, -v48
	s_delay_alu instid0(VALU_DEP_2) | instskip(NEXT) | instid1(VALU_DEP_2)
	v_dual_add_f32 v22, v22, v45 :: v_dual_mul_f32 v45, 0xbf52af12, v15
	v_dual_add_f32 v14, v46, v14 :: v_dual_mul_f32 v15, 0xbf29c268, v15
	s_delay_alu instid0(VALU_DEP_2) | instskip(SKIP_1) | instid1(VALU_DEP_1)
	v_fmamk_f32 v46, v47, 0x3f116cb1, v45
	v_fma_f32 v45, 0x3f116cb1, v47, -v45
	v_dual_add_f32 v7, v45, v7 :: v_dual_fmamk_f32 v48, v47, 0x3f62ad3f, v12
	v_fma_f32 v12, 0x3f62ad3f, v47, -v12
	s_delay_alu instid0(VALU_DEP_2) | instskip(NEXT) | instid1(VALU_DEP_2)
	v_add_f32_e32 v43, v48, v43
	v_add_f32_e32 v2, v12, v2
	;; [unrolled: 1-line block ×3, first 2 shown]
	v_sub_f32_e32 v12, v27, v29
	v_add_f32_e32 v44, v46, v44
	v_fmamk_f32 v46, v47, 0xbf3f9e67, v15
	v_fma_f32 v15, 0xbf3f9e67, v47, -v15
	s_delay_alu instid0(VALU_DEP_4) | instskip(NEXT) | instid1(VALU_DEP_3)
	v_mul_f32_e32 v50, 0xbf6f5d39, v12
	v_dual_mul_f32 v47, 0x3f29c268, v12 :: v_dual_add_f32 v46, v46, v49
	s_delay_alu instid0(VALU_DEP_3) | instskip(NEXT) | instid1(VALU_DEP_3)
	v_add_f32_e32 v3, v15, v3
	v_fma_f32 v49, 0xbeb58ec6, v48, -v50
	s_delay_alu instid0(VALU_DEP_3) | instskip(SKIP_1) | instid1(VALU_DEP_3)
	v_fmamk_f32 v15, v48, 0xbf3f9e67, v47
	v_fma_f32 v47, 0xbf3f9e67, v48, -v47
	v_add_f32_e32 v5, v49, v5
	v_mul_f32_e32 v49, 0xbf7e222b, v12
	s_delay_alu instid0(VALU_DEP_3) | instskip(SKIP_1) | instid1(VALU_DEP_3)
	v_add_f32_e32 v13, v47, v13
	v_add_f32_e32 v15, v15, v16
	v_fmamk_f32 v47, v48, 0x3df6dbef, v49
	s_delay_alu instid0(VALU_DEP_1) | instskip(SKIP_2) | instid1(VALU_DEP_2)
	v_add_f32_e32 v43, v47, v43
	v_fmamk_f32 v45, v48, 0xbeb58ec6, v50
	v_fma_f32 v49, 0x3df6dbef, v48, -v49
	v_add_f32_e32 v4, v45, v4
	v_mul_f32_e32 v45, 0x3eedf032, v12
	s_delay_alu instid0(VALU_DEP_1) | instskip(SKIP_1) | instid1(VALU_DEP_1)
	v_fmamk_f32 v16, v48, 0x3f62ad3f, v45
	v_fma_f32 v45, 0x3f62ad3f, v48, -v45
	v_dual_add_f32 v14, v45, v14 :: v_dual_sub_f32 v45, v19, v25
	s_delay_alu instid0(VALU_DEP_3) | instskip(SKIP_2) | instid1(VALU_DEP_4)
	v_add_f32_e32 v16, v16, v22
	v_mul_f32_e32 v22, 0x3e750f2a, v12
	v_mul_f32_e32 v12, 0x3f52af12, v12
	;; [unrolled: 1-line block ×3, first 2 shown]
	s_delay_alu instid0(VALU_DEP_3) | instskip(SKIP_1) | instid1(VALU_DEP_4)
	v_fmamk_f32 v47, v48, 0xbf788fa5, v22
	v_fma_f32 v22, 0xbf788fa5, v48, -v22
	v_fmamk_f32 v51, v48, 0x3f116cb1, v12
	v_fma_f32 v12, 0x3f116cb1, v48, -v12
	s_delay_alu instid0(VALU_DEP_3) | instskip(SKIP_2) | instid1(VALU_DEP_4)
	v_dual_add_f32 v44, v47, v44 :: v_dual_add_f32 v7, v22, v7
	v_dual_add_f32 v2, v49, v2 :: v_dual_add_f32 v49, v18, v24
	v_mul_f32_e32 v47, 0x3f7e222b, v45
	v_add_f32_e32 v3, v12, v3
	s_delay_alu instid0(VALU_DEP_3) | instskip(NEXT) | instid1(VALU_DEP_1)
	v_fma_f32 v48, 0xbf3f9e67, v49, -v50
	v_dual_add_f32 v5, v48, v5 :: v_dual_fmamk_f32 v22, v49, 0xbf3f9e67, v50
	s_delay_alu instid0(VALU_DEP_1) | instskip(SKIP_2) | instid1(VALU_DEP_2)
	v_add_f32_e32 v4, v22, v4
	v_fmamk_f32 v22, v49, 0x3df6dbef, v47
	v_fma_f32 v47, 0x3df6dbef, v49, -v47
	v_dual_add_f32 v15, v22, v15 :: v_dual_mul_f32 v12, 0xbf52af12, v45
	s_delay_alu instid0(VALU_DEP_1) | instskip(SKIP_1) | instid1(VALU_DEP_1)
	v_dual_add_f32 v13, v47, v13 :: v_dual_fmamk_f32 v50, v49, 0x3f116cb1, v12
	v_fma_f32 v12, 0x3f116cb1, v49, -v12
	v_add_f32_e32 v12, v12, v14
	v_mul_f32_e32 v48, 0x3e750f2a, v45
	v_mul_f32_e32 v14, 0x3eedf032, v45
	s_delay_alu instid0(VALU_DEP_2) | instskip(SKIP_1) | instid1(VALU_DEP_2)
	v_fmamk_f32 v22, v49, 0xbf788fa5, v48
	v_fma_f32 v47, 0xbf788fa5, v49, -v48
	v_dual_add_f32 v22, v22, v43 :: v_dual_mul_f32 v43, 0xbf6f5d39, v45
	s_delay_alu instid0(VALU_DEP_2) | instskip(SKIP_3) | instid1(VALU_DEP_4)
	v_dual_add_f32 v45, v47, v2 :: v_dual_fmamk_f32 v2, v49, 0x3f62ad3f, v14
	v_dual_sub_f32 v47, v9, v11 :: v_dual_add_f32 v16, v50, v16
	v_fma_f32 v14, 0x3f62ad3f, v49, -v14
	v_add_f32_e32 v50, v8, v10
	v_add_f32_e32 v44, v2, v44
	v_fma_f32 v2, 0xbeb58ec6, v49, -v43
	s_delay_alu instid0(VALU_DEP_4) | instskip(NEXT) | instid1(VALU_DEP_2)
	v_dual_fmamk_f32 v48, v49, 0xbeb58ec6, v43 :: v_dual_add_f32 v7, v14, v7
	v_add_f32_e32 v49, v2, v3
	v_mul_f32_e32 v2, 0xbf29c268, v47
	v_dual_add_f32 v46, v51, v46 :: v_dual_mul_f32 v51, 0xbe750f2a, v47
	s_delay_alu instid0(VALU_DEP_1) | instskip(SKIP_2) | instid1(VALU_DEP_3)
	v_dual_add_f32 v14, v48, v46 :: v_dual_fmamk_f32 v43, v50, 0xbf788fa5, v51
	v_mul_f32_e32 v46, 0x3eedf032, v47
	v_fma_f32 v48, 0xbf788fa5, v50, -v51
	v_add_f32_e32 v51, v43, v4
	v_fmamk_f32 v43, v50, 0xbf3f9e67, v2
	s_delay_alu instid0(VALU_DEP_3) | instskip(SKIP_2) | instid1(VALU_DEP_3)
	v_dual_fmamk_f32 v4, v50, 0x3f62ad3f, v46 :: v_dual_add_f32 v3, v48, v5
	v_fma_f32 v5, 0x3f62ad3f, v50, -v46
	v_mul_f32_e32 v46, 0x3f52af12, v47
	v_dual_add_f32 v15, v4, v15 :: v_dual_lshlrev_b32 v48, 2, v42
	v_fma_f32 v4, 0xbf3f9e67, v50, -v2
	s_delay_alu instid0(VALU_DEP_4) | instskip(NEXT) | instid1(VALU_DEP_4)
	v_dual_add_f32 v2, v5, v13 :: v_dual_add_f32 v13, v43, v16
	v_fma_f32 v43, 0x3f116cb1, v50, -v46
	s_delay_alu instid0(VALU_DEP_3) | instskip(SKIP_2) | instid1(VALU_DEP_4)
	v_dual_fmamk_f32 v16, v50, 0x3f116cb1, v46 :: v_dual_add_f32 v5, v4, v12
	v_mul_f32_e32 v46, 0x3f7e222b, v47
	v_mul_f32_e32 v12, 0xbf6f5d39, v47
	v_add_f32_e32 v4, v43, v45
	v_lshl_add_u32 v45, v6, 2, 0
	s_delay_alu instid0(VALU_DEP_4) | instskip(NEXT) | instid1(VALU_DEP_4)
	v_dual_add_f32 v16, v16, v22 :: v_dual_fmamk_f32 v47, v50, 0x3df6dbef, v46
	v_fmamk_f32 v43, v50, 0xbeb58ec6, v12
	v_fma_f32 v46, 0x3df6dbef, v50, -v46
	s_delay_alu instid0(VALU_DEP_4)
	v_mad_u32_u24 v22, v41, 52, v45
	v_fma_f32 v12, 0xbeb58ec6, v50, -v12
	v_add_f32_e32 v14, v47, v14
	v_add_f32_e32 v44, v43, v44
	;; [unrolled: 1-line block ×3, first 2 shown]
	v_mad_i32_i24 v47, 0xffffffd0, v41, v22
	v_lshl_add_u32 v50, v41, 2, v45
	v_add_f32_e32 v43, v12, v7
	ds_store_2addr_b32 v22, v17, v51 offset1:1
	ds_store_2addr_b32 v22, v15, v13 offset0:2 offset1:3
	ds_store_2addr_b32 v22, v16, v44 offset0:4 offset1:5
	;; [unrolled: 1-line block ×5, first 2 shown]
	ds_store_b32 v22, v3 offset:48
	s_waitcnt lgkmcnt(0)
	s_barrier
	buffer_gl0_inv
	ds_load_2addr_b32 v[14:15], v47 offset0:13 offset1:26
	ds_load_2addr_b32 v[12:13], v47 offset0:39 offset1:52
	;; [unrolled: 1-line block ×3, first 2 shown]
	ds_load_b32 v45, v50
	ds_load_b32 v46, v47 offset:364
	v_lshlrev_b32_e32 v49, 2, v6
                                        ; implicit-def: $vgpr6
                                        ; implicit-def: $vgpr44
	s_and_saveexec_b32 s1, s0
	s_cbranch_execz .LBB0_15
; %bb.14:
	s_delay_alu instid0(VALU_DEP_1)
	v_add3_u32 v43, 0, v48, v49
	ds_load_2addr_b32 v[4:5], v47 offset0:21 offset1:34
	ds_load_2addr_b32 v[2:3], v47 offset0:47 offset1:60
	;; [unrolled: 1-line block ×3, first 2 shown]
	ds_load_b32 v43, v43
	ds_load_b32 v44, v47 offset:396
.LBB0_15:
	s_or_b32 exec_lo, exec_lo, s1
	v_dual_add_f32 v51, v33, v23 :: v_dual_sub_f32 v32, v32, v36
	v_dual_add_f32 v33, v33, v37 :: v_dual_add_f32 v36, v31, v39
	s_delay_alu instid0(VALU_DEP_2) | instskip(NEXT) | instid1(VALU_DEP_3)
	v_dual_sub_f32 v30, v30, v38 :: v_dual_add_f32 v31, v31, v51
	v_mul_f32_e32 v38, 0xbeedf032, v32
	v_mul_f32_e32 v53, 0xbf6f5d39, v32
	s_waitcnt lgkmcnt(0)
	s_delay_alu instid0(VALU_DEP_3)
	v_dual_mul_f32 v56, 0xbf6f5d39, v30 :: v_dual_add_f32 v31, v21, v31
	v_mul_f32_e32 v52, 0xbf7e222b, v32
	v_fma_f32 v59, 0x3f62ad3f, v33, -v38
	v_fma_f32 v62, 0xbeb58ec6, v33, -v53
	v_fmac_f32_e32 v53, 0xbeb58ec6, v33
	v_dual_add_f32 v31, v27, v31 :: v_dual_mul_f32 v54, 0xbf29c268, v32
	v_fma_f32 v61, 0x3df6dbef, v33, -v52
	v_fma_f32 v65, 0xbeb58ec6, v36, -v56
	s_delay_alu instid0(VALU_DEP_3) | instskip(SKIP_3) | instid1(VALU_DEP_4)
	v_dual_fmac_f32 v56, 0xbeb58ec6, v36 :: v_dual_add_f32 v31, v19, v31
	v_mul_f32_e32 v58, 0x3f29c268, v30
	v_fma_f32 v63, 0xbf3f9e67, v33, -v54
	v_dual_fmac_f32 v54, 0xbf3f9e67, v33 :: v_dual_add_f32 v59, v59, v23
	v_dual_add_f32 v31, v9, v31 :: v_dual_fmac_f32 v38, 0x3f62ad3f, v33
	v_add_f32_e32 v61, v61, v23
	v_dual_add_f32 v53, v53, v23 :: v_dual_sub_f32 v20, v20, v34
	s_delay_alu instid0(VALU_DEP_3) | instskip(NEXT) | instid1(VALU_DEP_4)
	v_add_f32_e32 v31, v11, v31
	v_dual_mul_f32 v51, 0xbf52af12, v32 :: v_dual_add_f32 v38, v38, v23
	v_dual_mul_f32 v32, 0xbe750f2a, v32 :: v_dual_mul_f32 v57, 0xbe750f2a, v30
	s_delay_alu instid0(VALU_DEP_3) | instskip(NEXT) | instid1(VALU_DEP_3)
	v_dual_fmac_f32 v52, 0x3df6dbef, v33 :: v_dual_add_f32 v31, v25, v31
	v_fma_f32 v60, 0x3f116cb1, v33, -v51
	v_mul_f32_e32 v55, 0xbf52af12, v30
	s_delay_alu instid0(VALU_DEP_3)
	v_dual_fmac_f32 v51, 0x3f116cb1, v33 :: v_dual_add_f32 v52, v52, v23
	v_fma_f32 v64, 0xbf788fa5, v33, -v32
	v_dual_fmac_f32 v32, 0xbf788fa5, v33 :: v_dual_add_f32 v31, v29, v31
	v_add_f32_e32 v60, v60, v23
	v_fma_f32 v33, 0x3f116cb1, v36, -v55
	v_dual_fmac_f32 v55, 0x3f116cb1, v36 :: v_dual_add_f32 v62, v62, v23
	v_add_f32_e32 v51, v51, v23
	v_add_f32_e32 v31, v35, v31
	;; [unrolled: 1-line block ×4, first 2 shown]
	s_barrier
	buffer_gl0_inv
	v_add_f32_e32 v31, v39, v31
	v_add_f32_e32 v39, v64, v23
	;; [unrolled: 1-line block ×3, first 2 shown]
	v_dual_add_f32 v32, v33, v59 :: v_dual_add_f32 v33, v55, v38
	v_fma_f32 v55, 0xbf3f9e67, v36, -v58
	v_dual_fmac_f32 v58, 0xbf3f9e67, v36 :: v_dual_add_f32 v51, v56, v51
	v_mul_f32_e32 v56, 0x3f7e222b, v30
	v_fma_f32 v38, 0xbf788fa5, v36, -v57
	v_fmac_f32_e32 v57, 0xbf788fa5, v36
	s_delay_alu instid0(VALU_DEP_4) | instskip(NEXT) | instid1(VALU_DEP_4)
	v_dual_mul_f32 v30, 0x3eedf032, v30 :: v_dual_add_f32 v53, v58, v53
	v_fma_f32 v34, 0x3df6dbef, v36, -v56
	v_dual_fmac_f32 v56, 0x3df6dbef, v36 :: v_dual_add_f32 v31, v37, v31
	s_delay_alu instid0(VALU_DEP_4) | instskip(NEXT) | instid1(VALU_DEP_3)
	v_add_f32_e32 v52, v57, v52
	v_dual_add_f32 v37, v65, v60 :: v_dual_add_f32 v34, v34, v63
	v_add_f32_e32 v21, v21, v35
	v_mul_f32_e32 v35, 0xbf7e222b, v20
	v_fma_f32 v57, 0x3f62ad3f, v36, -v30
	v_fmac_f32_e32 v30, 0x3f62ad3f, v36
	v_add_f32_e32 v36, v56, v54
	v_mul_f32_e32 v56, 0xbe750f2a, v20
	v_fma_f32 v54, 0x3df6dbef, v21, -v35
	v_add_f32_e32 v55, v55, v62
	v_add_f32_e32 v23, v30, v23
	;; [unrolled: 1-line block ×3, first 2 shown]
	v_sub_f32_e32 v26, v26, v28
	v_add_f32_e32 v30, v54, v32
	v_fma_f32 v32, 0xbf788fa5, v21, -v56
	v_dual_mul_f32 v54, 0x3f6f5d39, v20 :: v_dual_add_f32 v19, v19, v25
	v_sub_f32_e32 v18, v18, v24
	v_sub_f32_e32 v10, v8, v10
	s_delay_alu instid0(VALU_DEP_4) | instskip(NEXT) | instid1(VALU_DEP_4)
	v_add_f32_e32 v32, v32, v37
	v_fma_f32 v37, 0xbeb58ec6, v21, -v54
	v_fmac_f32_e32 v54, 0xbeb58ec6, v21
	v_fmac_f32_e32 v35, 0x3df6dbef, v21
	v_dual_add_f32 v39, v57, v39 :: v_dual_fmac_f32 v56, 0xbf788fa5, v21
	s_delay_alu instid0(VALU_DEP_4) | instskip(NEXT) | instid1(VALU_DEP_3)
	v_dual_add_f32 v37, v37, v38 :: v_dual_mul_f32 v38, 0xbf52af12, v20
	v_dual_add_f32 v52, v54, v52 :: v_dual_add_f32 v33, v35, v33
	s_delay_alu instid0(VALU_DEP_3) | instskip(NEXT) | instid1(VALU_DEP_3)
	v_dual_add_f32 v51, v56, v51 :: v_dual_mul_f32 v8, 0xbf6f5d39, v18
	v_fma_f32 v28, 0x3f116cb1, v21, -v38
	v_mul_f32_e32 v35, 0x3eedf032, v20
	v_mul_f32_e32 v20, 0xbf29c268, v20
	v_fmac_f32_e32 v38, 0x3f116cb1, v21
	s_delay_alu instid0(VALU_DEP_4) | instskip(NEXT) | instid1(VALU_DEP_4)
	v_add_f32_e32 v28, v28, v34
	v_fma_f32 v56, 0x3f62ad3f, v21, -v35
	s_delay_alu instid0(VALU_DEP_4)
	v_fma_f32 v34, 0xbf3f9e67, v21, -v20
	v_fmac_f32_e32 v35, 0x3f62ad3f, v21
	v_dual_fmac_f32 v20, 0xbf3f9e67, v21 :: v_dual_add_f32 v21, v38, v36
	v_add_f32_e32 v27, v27, v29
	v_mul_f32_e32 v29, 0xbf6f5d39, v26
	v_mul_f32_e32 v38, 0x3f29c268, v26
	v_dual_add_f32 v34, v34, v39 :: v_dual_add_f32 v35, v35, v53
	v_add_f32_e32 v20, v20, v23
	s_delay_alu instid0(VALU_DEP_4) | instskip(SKIP_1) | instid1(VALU_DEP_2)
	v_fma_f32 v36, 0xbeb58ec6, v27, -v29
	v_add_f32_e32 v54, v56, v55
	v_add_f32_e32 v23, v36, v30
	v_fma_f32 v30, 0xbf3f9e67, v27, -v38
	v_mul_f32_e32 v36, 0x3eedf032, v26
	s_delay_alu instid0(VALU_DEP_2) | instskip(NEXT) | instid1(VALU_DEP_2)
	v_add_f32_e32 v30, v30, v32
	v_fma_f32 v32, 0x3f62ad3f, v27, -v36
	s_delay_alu instid0(VALU_DEP_1) | instskip(NEXT) | instid1(VALU_DEP_1)
	v_dual_fmac_f32 v29, 0xbeb58ec6, v27 :: v_dual_add_f32 v32, v32, v37
	v_add_f32_e32 v29, v29, v33
	v_mul_f32_e32 v33, 0xbf7e222b, v26
	v_fmac_f32_e32 v36, 0x3f62ad3f, v27
	v_mul_f32_e32 v37, 0x3e750f2a, v26
	v_mul_f32_e32 v26, 0x3f52af12, v26
	s_delay_alu instid0(VALU_DEP_4) | instskip(SKIP_4) | instid1(VALU_DEP_4)
	v_fma_f32 v39, 0x3df6dbef, v27, -v33
	v_fmac_f32_e32 v38, 0xbf3f9e67, v27
	v_add_f32_e32 v36, v36, v52
	v_fma_f32 v24, 0xbf788fa5, v27, -v37
	v_fmac_f32_e32 v37, 0xbf788fa5, v27
	v_dual_add_f32 v39, v39, v54 :: v_dual_add_f32 v38, v38, v51
	s_delay_alu instid0(VALU_DEP_3) | instskip(SKIP_1) | instid1(VALU_DEP_4)
	v_dual_fmac_f32 v33, 0x3df6dbef, v27 :: v_dual_add_f32 v24, v24, v28
	v_fma_f32 v28, 0x3f116cb1, v27, -v26
	v_dual_add_f32 v21, v37, v21 :: v_dual_fmac_f32 v26, 0x3f116cb1, v27
	s_delay_alu instid0(VALU_DEP_3) | instskip(SKIP_1) | instid1(VALU_DEP_3)
	v_add_f32_e32 v33, v33, v35
	v_mul_f32_e32 v25, 0xbf29c268, v18
	v_dual_mul_f32 v35, 0x3f7e222b, v18 :: v_dual_add_f32 v20, v26, v20
	v_add_f32_e32 v28, v28, v34
	s_delay_alu instid0(VALU_DEP_3) | instskip(SKIP_1) | instid1(VALU_DEP_4)
	v_fma_f32 v27, 0xbf3f9e67, v19, -v25
	v_fmac_f32_e32 v25, 0xbf3f9e67, v19
	v_fma_f32 v26, 0x3df6dbef, v19, -v35
	s_delay_alu instid0(VALU_DEP_3) | instskip(SKIP_1) | instid1(VALU_DEP_3)
	v_add_f32_e32 v23, v27, v23
	v_mul_f32_e32 v27, 0xbf52af12, v18
	v_add_f32_e32 v26, v26, v30
	s_delay_alu instid0(VALU_DEP_2) | instskip(NEXT) | instid1(VALU_DEP_1)
	v_fma_f32 v30, 0x3f116cb1, v19, -v27
	v_dual_add_f32 v30, v30, v32 :: v_dual_fmac_f32 v35, 0x3df6dbef, v19
	v_add_f32_e32 v25, v25, v29
	v_mul_f32_e32 v29, 0x3e750f2a, v18
	s_delay_alu instid0(VALU_DEP_3) | instskip(NEXT) | instid1(VALU_DEP_2)
	v_add_f32_e32 v34, v35, v38
	v_fma_f32 v35, 0xbf788fa5, v19, -v29
	v_fmac_f32_e32 v29, 0xbf788fa5, v19
	s_delay_alu instid0(VALU_DEP_2) | instskip(NEXT) | instid1(VALU_DEP_2)
	v_dual_mul_f32 v32, 0x3eedf032, v18 :: v_dual_add_f32 v35, v35, v39
	v_add_f32_e32 v29, v29, v33
	s_delay_alu instid0(VALU_DEP_2)
	v_fma_f32 v18, 0x3f62ad3f, v19, -v32
	v_add_f32_e32 v33, v9, v11
	v_fma_f32 v11, 0xbeb58ec6, v19, -v8
	v_fmac_f32_e32 v8, 0xbeb58ec6, v19
	v_fmac_f32_e32 v32, 0x3f62ad3f, v19
	v_dual_add_f32 v18, v18, v24 :: v_dual_fmac_f32 v27, 0x3f116cb1, v19
	s_delay_alu instid0(VALU_DEP_4) | instskip(NEXT) | instid1(VALU_DEP_4)
	v_add_f32_e32 v24, v11, v28
	v_add_f32_e32 v20, v8, v20
	s_delay_alu instid0(VALU_DEP_4) | instskip(SKIP_3) | instid1(VALU_DEP_3)
	v_add_f32_e32 v21, v32, v21
	v_mul_f32_e32 v11, 0x3eedf032, v10
	v_add_f32_e32 v27, v27, v36
	v_mul_f32_e32 v9, 0xbe750f2a, v10
	v_fma_f32 v8, 0x3f62ad3f, v33, -v11
	s_delay_alu instid0(VALU_DEP_1) | instskip(NEXT) | instid1(VALU_DEP_1)
	v_dual_fmac_f32 v11, 0x3f62ad3f, v33 :: v_dual_add_f32 v32, v8, v26
	v_add_f32_e32 v8, v11, v34
	s_delay_alu instid0(VALU_DEP_4) | instskip(NEXT) | instid1(VALU_DEP_1)
	v_fma_f32 v19, 0xbf788fa5, v33, -v9
	v_add_f32_e32 v19, v19, v23
	v_mul_f32_e32 v23, 0xbf29c268, v10
	s_delay_alu instid0(VALU_DEP_1) | instskip(SKIP_1) | instid1(VALU_DEP_2)
	v_fma_f32 v28, 0xbf3f9e67, v33, -v23
	v_fmac_f32_e32 v23, 0xbf3f9e67, v33
	v_dual_fmac_f32 v9, 0xbf788fa5, v33 :: v_dual_add_f32 v28, v28, v30
	s_delay_alu instid0(VALU_DEP_2) | instskip(SKIP_1) | instid1(VALU_DEP_3)
	v_add_f32_e32 v11, v23, v27
	v_mul_f32_e32 v23, 0x3f7e222b, v10
	v_dual_add_f32 v9, v9, v25 :: v_dual_mul_f32 v30, 0xbf6f5d39, v10
	s_delay_alu instid0(VALU_DEP_2) | instskip(SKIP_1) | instid1(VALU_DEP_1)
	v_fma_f32 v34, 0x3df6dbef, v33, -v23
	v_fmac_f32_e32 v23, 0x3df6dbef, v33
	v_dual_mul_f32 v25, 0x3f52af12, v10 :: v_dual_add_f32 v20, v23, v20
	s_delay_alu instid0(VALU_DEP_1) | instskip(SKIP_1) | instid1(VALU_DEP_2)
	v_fma_f32 v26, 0x3f116cb1, v33, -v25
	v_fmac_f32_e32 v25, 0x3f116cb1, v33
	v_add_f32_e32 v27, v26, v35
	v_fma_f32 v26, 0xbeb58ec6, v33, -v30
	v_fmac_f32_e32 v30, 0xbeb58ec6, v33
	s_delay_alu instid0(VALU_DEP_4) | instskip(NEXT) | instid1(VALU_DEP_3)
	v_add_f32_e32 v10, v25, v29
	v_add_f32_e32 v18, v26, v18
	s_delay_alu instid0(VALU_DEP_3)
	v_add_f32_e32 v26, v30, v21
	v_add_f32_e32 v21, v34, v24
	ds_store_2addr_b32 v22, v31, v19 offset1:1
	ds_store_2addr_b32 v22, v32, v28 offset0:2 offset1:3
	ds_store_2addr_b32 v22, v27, v18 offset0:4 offset1:5
	ds_store_2addr_b32 v22, v21, v20 offset0:6 offset1:7
	ds_store_2addr_b32 v22, v26, v10 offset0:8 offset1:9
	ds_store_2addr_b32 v22, v11, v8 offset0:10 offset1:11
	ds_store_b32 v22, v9 offset:48
	s_waitcnt lgkmcnt(0)
	s_barrier
	buffer_gl0_inv
	ds_load_2addr_b32 v[20:21], v47 offset0:13 offset1:26
	ds_load_2addr_b32 v[24:25], v47 offset0:39 offset1:52
	;; [unrolled: 1-line block ×3, first 2 shown]
	ds_load_b32 v28, v50
	ds_load_b32 v29, v47 offset:364
                                        ; implicit-def: $vgpr18
                                        ; implicit-def: $vgpr27
	s_and_saveexec_b32 s1, s0
	s_cbranch_execz .LBB0_17
; %bb.16:
	v_add3_u32 v26, 0, v48, v49
	ds_load_2addr_b32 v[10:11], v47 offset0:21 offset1:34
	ds_load_2addr_b32 v[8:9], v47 offset0:47 offset1:60
	;; [unrolled: 1-line block ×3, first 2 shown]
	ds_load_b32 v26, v26
	ds_load_b32 v27, v47 offset:396
.LBB0_17:
	s_or_b32 exec_lo, exec_lo, s1
	s_and_saveexec_b32 s0, vcc_lo
	s_cbranch_execz .LBB0_20
; %bb.18:
	v_mul_u32_u24_e32 v30, 7, v41
	v_mad_u64_u32 v[51:52], null, s8, v41, 0
	v_add_co_u32 v0, vcc_lo, s10, v0
	s_delay_alu instid0(VALU_DEP_3)
	v_lshlrev_b32_e32 v38, 3, v30
	v_add_co_ci_u32_e32 v1, vcc_lo, s11, v1, vcc_lo
	v_cmp_gt_u32_e32 vcc_lo, 13, v40
	s_clause 0x3
	global_load_b128 v[30:33], v38, s[4:5] offset:16
	global_load_b128 v[34:37], v38, s[4:5]
	global_load_b128 v[47:50], v38, s[4:5] offset:32
	global_load_b64 v[38:39], v38, s[4:5] offset:48
	v_add_nc_u32_e32 v70, 13, v41
	v_add_nc_u32_e32 v72, 39, v41
	;; [unrolled: 1-line block ×4, first 2 shown]
	s_delay_alu instid0(VALU_DEP_4) | instskip(SKIP_3) | instid1(VALU_DEP_4)
	v_mad_u64_u32 v[53:54], null, s8, v70, 0
	v_add_nc_u32_e32 v71, 26, v41
	v_mad_u64_u32 v[57:58], null, s8, v72, 0
	v_add_nc_u32_e32 v75, 0x4e, v41
	v_mad_u64_u32 v[67:68], null, s9, v41, v[52:53]
	v_mov_b32_e32 v52, v54
	v_mad_u64_u32 v[55:56], null, s8, v71, 0
	v_add_nc_u32_e32 v73, 52, v41
	s_delay_alu instid0(VALU_DEP_3) | instskip(SKIP_1) | instid1(VALU_DEP_4)
	v_mad_u64_u32 v[68:69], null, s9, v70, v[52:53]
	v_mov_b32_e32 v52, v67
	v_mov_b32_e32 v54, v56
	s_delay_alu instid0(VALU_DEP_4) | instskip(SKIP_2) | instid1(VALU_DEP_4)
	v_mad_u64_u32 v[59:60], null, s8, v73, 0
	v_mov_b32_e32 v56, v58
	v_mad_u64_u32 v[63:64], null, s8, v75, 0
	v_mad_u64_u32 v[69:70], null, s9, v71, v[54:55]
	s_delay_alu instid0(VALU_DEP_3) | instskip(SKIP_1) | instid1(VALU_DEP_3)
	v_mad_u64_u32 v[70:71], null, s9, v72, v[56:57]
	v_mov_b32_e32 v58, v60
	v_mov_b32_e32 v56, v69
	s_waitcnt vmcnt(1)
	v_mul_f32_e32 v69, v17, v49
	s_delay_alu instid0(VALU_DEP_3)
	v_mad_u64_u32 v[71:72], null, s9, v73, v[58:59]
	v_mov_b32_e32 v58, v70
	v_mul_f32_e32 v70, v14, v35
	s_waitcnt lgkmcnt(4)
	v_mul_f32_e32 v35, v20, v35
	v_mad_u64_u32 v[61:62], null, s8, v74, 0
	v_mul_f32_e32 v17, v17, v50
	v_mad_u64_u32 v[65:66], null, s8, v76, 0
	s_delay_alu instid0(VALU_DEP_4)
	v_dual_mov_b32 v54, v68 :: v_dual_fmac_f32 v35, v14, v34
	v_fma_f32 v20, v20, v34, -v70
	v_mov_b32_e32 v60, v62
	s_waitcnt lgkmcnt(2)
	v_dual_mov_b32 v62, v64 :: v_dual_fmac_f32 v69, v23, v50
	v_mov_b32_e32 v64, v66
	v_lshlrev_b64 v[53:54], 3, v[53:54]
	s_delay_alu instid0(VALU_DEP_3) | instskip(SKIP_2) | instid1(VALU_DEP_2)
	v_mad_u64_u32 v[66:67], null, s9, v75, v[62:63]
	v_mul_f32_e32 v67, v13, v33
	v_mul_f32_e32 v33, v25, v33
	v_fma_f32 v25, v25, v32, -v67
	s_delay_alu instid0(VALU_DEP_2)
	v_fmac_f32_e32 v33, v13, v32
	v_mul_f32_e32 v68, v15, v36
	v_mul_f32_e32 v15, v15, v37
	v_mad_u64_u32 v[72:73], null, s9, v74, v[60:61]
	v_dual_mov_b32 v60, v71 :: v_dual_mul_f32 v71, v16, v48
	v_mul_f32_e32 v48, v22, v48
	v_mad_u64_u32 v[73:74], null, s9, v76, v[64:65]
	v_fma_f32 v14, v21, v36, -v15
	v_fma_f32 v15, v23, v49, -v17
	s_delay_alu instid0(VALU_DEP_4)
	v_fmac_f32_e32 v48, v16, v47
	v_mov_b32_e32 v62, v72
	v_mul_f32_e32 v72, v12, v30
	v_mul_f32_e32 v12, v12, v31
	s_waitcnt lgkmcnt(1)
	v_dual_sub_f32 v16, v28, v25 :: v_dual_sub_f32 v25, v35, v48
	v_fma_f32 v22, v22, v47, -v71
	v_fmac_f32_e32 v72, v24, v31
	v_fma_f32 v24, v24, v30, -v12
	v_mov_b32_e32 v64, v66
	v_dual_mov_b32 v66, v73 :: v_dual_sub_f32 v15, v14, v15
	s_waitcnt vmcnt(0)
	v_mul_f32_e32 v73, v46, v38
	v_mul_f32_e32 v46, v46, v39
	v_fma_f32 v35, v35, 2.0, -v25
	v_lshlrev_b64 v[57:58], 3, v[57:58]
	v_fma_f32 v34, v14, 2.0, -v15
	s_waitcnt lgkmcnt(0)
	v_fmac_f32_e32 v73, v29, v39
	v_fma_f32 v12, v29, v38, -v46
	v_sub_f32_e32 v29, v45, v33
	v_lshlrev_b64 v[51:52], 3, v[51:52]
	v_lshlrev_b64 v[61:62], 3, v[61:62]
	v_lshlrev_b64 v[65:66], 3, v[65:66]
	v_sub_f32_e32 v23, v24, v12
	v_add_f32_e32 v33, v29, v15
	v_fma_f32 v36, v45, 2.0, -v29
	v_add_co_u32 v51, s0, v0, v51
	s_delay_alu instid0(VALU_DEP_4) | instskip(SKIP_3) | instid1(VALU_DEP_3)
	v_add_f32_e32 v32, v25, v23
	v_dual_fmac_f32 v68, v21, v37 :: v_dual_sub_f32 v21, v20, v22
	v_sub_f32_e32 v22, v72, v73
	v_add_co_ci_u32_e64 v52, s0, v1, v52, s0
	v_sub_f32_e32 v17, v68, v69
	s_delay_alu instid0(VALU_DEP_4) | instskip(NEXT) | instid1(VALU_DEP_4)
	v_fma_f32 v37, v20, 2.0, -v21
	v_sub_f32_e32 v31, v21, v22
	v_fma_f32 v20, v24, 2.0, -v23
	v_fma_f32 v45, v25, 2.0, -v32
	v_sub_f32_e32 v30, v16, v17
	v_lshlrev_b64 v[55:56], 3, v[55:56]
	v_fma_f32 v39, v21, 2.0, -v31
	v_sub_f32_e32 v23, v37, v20
	v_add_co_u32 v53, s0, v0, v53
	v_fma_f32 v38, v16, 2.0, -v30
	v_dual_fmamk_f32 v15, v31, 0x3f3504f3, v30 :: v_dual_fmamk_f32 v14, v32, 0x3f3504f3, v33
	v_fma_f32 v46, v29, 2.0, -v33
	v_add_co_ci_u32_e64 v54, s0, v1, v54, s0
	s_delay_alu instid0(VALU_DEP_3)
	v_fmac_f32_e32 v15, 0xbf3504f3, v32
	v_fmamk_f32 v21, v39, 0xbf3504f3, v38
	v_fma_f32 v28, v28, 2.0, -v16
	v_fma_f32 v17, v68, 2.0, -v17
	v_lshlrev_b64 v[59:60], 3, v[59:60]
	v_add_co_u32 v55, s0, v0, v55
	s_delay_alu instid0(VALU_DEP_4) | instskip(SKIP_3) | instid1(VALU_DEP_4)
	v_dual_sub_f32 v24, v28, v34 :: v_dual_fmac_f32 v21, 0xbf3504f3, v45
	v_fma_f32 v22, v72, 2.0, -v22
	v_sub_f32_e32 v34, v36, v17
	v_add_co_ci_u32_e64 v56, s0, v1, v56, s0
	v_fma_f32 v32, v28, 2.0, -v24
	v_fma_f32 v28, v37, 2.0, -v23
	v_sub_f32_e32 v22, v35, v22
	v_fmac_f32_e32 v14, 0x3f3504f3, v31
	v_fma_f32 v36, v36, 2.0, -v34
	v_add_co_u32 v57, s0, v0, v57
	v_sub_f32_e32 v29, v32, v28
	v_fma_f32 v31, v35, 2.0, -v22
	v_fmamk_f32 v20, v45, 0xbf3504f3, v46
	v_add_co_ci_u32_e64 v58, s0, v1, v58, s0
	v_lshlrev_b64 v[63:64], 3, v[63:64]
	v_add_co_u32 v59, s0, v0, v59
	v_sub_f32_e32 v28, v36, v31
	v_add_co_ci_u32_e64 v60, s0, v1, v60, s0
	v_fmac_f32_e32 v20, 0x3f3504f3, v39
	v_add_co_u32 v61, s0, v0, v61
	v_dual_sub_f32 v17, v24, v22 :: v_dual_add_f32 v16, v34, v23
	v_add_co_ci_u32_e64 v62, s0, v1, v62, s0
	v_add_co_u32 v12, s0, v0, v63
	v_fma_f32 v22, v33, 2.0, -v14
	v_fma_f32 v33, v32, 2.0, -v29
	;; [unrolled: 1-line block ×6, first 2 shown]
	v_add_co_ci_u32_e64 v13, s0, v1, v64, s0
	v_fma_f32 v25, v24, 2.0, -v17
	v_fma_f32 v24, v34, 2.0, -v16
	v_add_co_u32 v34, s0, v0, v65
	s_delay_alu instid0(VALU_DEP_1)
	v_add_co_ci_u32_e64 v35, s0, v1, v66, s0
	s_clause 0x7
	global_store_b64 v[51:52], v[32:33], off
	global_store_b64 v[53:54], v[30:31], off
	;; [unrolled: 1-line block ×8, first 2 shown]
	s_and_b32 exec_lo, exec_lo, vcc_lo
	s_cbranch_execz .LBB0_20
; %bb.19:
	v_dual_mov_b32 v13, 0 :: v_dual_add_nc_u32 v12, -5, v41
	v_cmp_gt_u32_e32 vcc_lo, 13, v42
	v_add_nc_u32_e32 v52, 21, v41
	v_add_nc_u32_e32 v58, 0x63, v41
	;; [unrolled: 1-line block ×3, first 2 shown]
	v_mad_u64_u32 v[24:25], null, s8, v40, 0
	v_cndmask_b32_e32 v12, v12, v42, vcc_lo
	v_mad_u64_u32 v[32:33], null, s8, v52, 0
	s_delay_alu instid0(VALU_DEP_4) | instskip(NEXT) | instid1(VALU_DEP_3)
	v_mad_u64_u32 v[34:35], null, s8, v53, 0
	v_mul_i32_i24_e32 v12, 7, v12
	v_add_nc_u32_e32 v54, 47, v41
	v_mad_u64_u32 v[47:48], null, s8, v58, 0
	v_add_nc_u32_e32 v57, 0x56, v41
	s_delay_alu instid0(VALU_DEP_4) | instskip(SKIP_2) | instid1(VALU_DEP_4)
	v_lshlrev_b64 v[12:13], 3, v[12:13]
	v_mad_u64_u32 v[49:50], null, s9, v40, v[25:26]
	v_mov_b32_e32 v25, v33
	v_mad_u64_u32 v[45:46], null, s8, v57, 0
	s_delay_alu instid0(VALU_DEP_4)
	v_add_co_u32 v16, vcc_lo, s4, v12
	v_add_co_ci_u32_e32 v17, vcc_lo, s5, v13, vcc_lo
	s_clause 0x3
	global_load_b128 v[12:15], v[16:17], off
	global_load_b128 v[20:23], v[16:17], off offset:16
	global_load_b128 v[28:31], v[16:17], off offset:32
	global_load_b64 v[16:17], v[16:17], off offset:48
	v_mov_b32_e32 v33, v35
	v_mad_u64_u32 v[36:37], null, s8, v54, 0
	v_dual_mov_b32 v40, v46 :: v_dual_add_nc_u32 v55, 60, v41
	v_add_nc_u32_e32 v56, 0x49, v41
	v_mad_u64_u32 v[50:51], null, s9, v52, v[25:26]
	s_delay_alu instid0(VALU_DEP_3) | instskip(SKIP_1) | instid1(VALU_DEP_4)
	v_mad_u64_u32 v[38:39], null, s8, v55, 0
	v_mov_b32_e32 v35, v37
	v_mad_u64_u32 v[41:42], null, s8, v56, 0
	v_mov_b32_e32 v25, v49
	;; [unrolled: 2-line block ×3, first 2 shown]
	v_mad_u64_u32 v[52:53], null, s9, v54, v[35:36]
	v_dual_mov_b32 v39, v42 :: v_dual_mov_b32 v42, v48
	v_mad_u64_u32 v[48:49], null, s9, v57, v[40:41]
	s_delay_alu instid0(VALU_DEP_4) | instskip(SKIP_2) | instid1(VALU_DEP_4)
	v_mad_u64_u32 v[53:54], null, s9, v55, v[37:38]
	v_mov_b32_e32 v35, v51
	v_mov_b32_e32 v37, v52
	;; [unrolled: 1-line block ×3, first 2 shown]
	v_mad_u64_u32 v[54:55], null, s9, v56, v[39:40]
	v_mad_u64_u32 v[55:56], null, s9, v58, v[42:43]
	v_mov_b32_e32 v33, v50
	v_mov_b32_e32 v39, v53
	v_lshlrev_b64 v[45:46], 3, v[45:46]
	v_mov_b32_e32 v42, v54
	v_lshlrev_b64 v[24:25], 3, v[24:25]
	;; [unrolled: 2-line block ×3, first 2 shown]
	s_delay_alu instid0(VALU_DEP_4) | instskip(NEXT) | instid1(VALU_DEP_4)
	v_lshlrev_b64 v[40:41], 3, v[41:42]
	v_add_co_u32 v24, vcc_lo, v0, v24
	v_add_co_ci_u32_e32 v25, vcc_lo, v1, v25, vcc_lo
	s_delay_alu instid0(VALU_DEP_4)
	v_add_co_u32 v32, vcc_lo, v0, v32
	v_add_co_ci_u32_e32 v33, vcc_lo, v1, v33, vcc_lo
	v_lshlrev_b64 v[47:48], 3, v[47:48]
	s_waitcnt vmcnt(3)
	v_mul_f32_e32 v42, v10, v13
	s_waitcnt vmcnt(2)
	v_mul_f32_e32 v50, v8, v21
	v_mul_f32_e32 v13, v4, v13
	;; [unrolled: 1-line block ×3, first 2 shown]
	s_waitcnt vmcnt(0)
	v_dual_mul_f32 v15, v5, v15 :: v_dual_mul_f32 v54, v27, v17
	v_mul_f32_e32 v52, v18, v29
	v_fmac_f32_e32 v42, v4, v12
	v_fmac_f32_e32 v50, v2, v20
	v_fma_f32 v4, v10, v12, -v13
	v_mul_f32_e32 v29, v6, v29
	v_dual_mul_f32 v21, v2, v21 :: v_dual_fmac_f32 v54, v44, v16
	v_dual_mul_f32 v51, v9, v23 :: v_dual_fmac_f32 v52, v6, v28
	v_mul_f32_e32 v53, v19, v31
	s_delay_alu instid0(VALU_DEP_4) | instskip(NEXT) | instid1(VALU_DEP_4)
	v_fma_f32 v6, v18, v28, -v29
	v_sub_f32_e32 v12, v50, v54
	v_fmac_f32_e32 v49, v5, v14
	v_fma_f32 v2, v8, v20, -v21
	v_fmac_f32_e32 v53, v7, v30
	v_dual_mul_f32 v23, v3, v23 :: v_dual_sub_f32 v6, v4, v6
	v_fmac_f32_e32 v51, v3, v22
	v_fma_f32 v5, v11, v14, -v15
	s_delay_alu instid0(VALU_DEP_4) | instskip(NEXT) | instid1(VALU_DEP_4)
	v_sub_f32_e32 v10, v49, v53
	v_fma_f32 v3, v9, v22, -v23
	v_sub_f32_e32 v11, v42, v52
	v_sub_f32_e32 v9, v43, v51
	v_mul_f32_e32 v17, v44, v17
	v_fma_f32 v4, v4, 2.0, -v6
	v_lshlrev_b64 v[34:35], 3, v[34:35]
	v_lshlrev_b64 v[36:37], 3, v[36:37]
	v_fma_f32 v13, v43, 2.0, -v9
	v_fma_f32 v8, v27, v16, -v17
	v_mul_f32_e32 v31, v7, v31
	v_fma_f32 v16, v42, 2.0, -v11
	v_fma_f32 v17, v50, 2.0, -v12
	v_lshlrev_b64 v[38:39], 3, v[38:39]
	v_sub_f32_e32 v8, v2, v8
	v_fma_f32 v7, v19, v30, -v31
	v_add_co_u32 v34, vcc_lo, v0, v34
	v_add_co_ci_u32_e32 v35, vcc_lo, v1, v35, vcc_lo
	s_delay_alu instid0(VALU_DEP_3)
	v_sub_f32_e32 v7, v5, v7
	v_fma_f32 v2, v2, 2.0, -v8
	v_add_f32_e32 v8, v11, v8
	v_fma_f32 v15, v49, 2.0, -v10
	v_add_co_u32 v36, vcc_lo, v0, v36
	v_add_f32_e32 v18, v9, v7
	s_delay_alu instid0(VALU_DEP_4)
	v_fma_f32 v11, v11, 2.0, -v8
	v_fma_f32 v5, v5, 2.0, -v7
	v_sub_f32_e32 v7, v16, v17
	v_add_co_ci_u32_e32 v37, vcc_lo, v1, v37, vcc_lo
	v_fma_f32 v20, v9, 2.0, -v18
	v_sub_f32_e32 v3, v26, v3
	v_add_co_u32 v38, vcc_lo, v0, v38
	v_add_co_ci_u32_e32 v39, vcc_lo, v1, v39, vcc_lo
	s_delay_alu instid0(VALU_DEP_3) | instskip(SKIP_3) | instid1(VALU_DEP_4)
	v_fma_f32 v14, v26, 2.0, -v3
	v_dual_sub_f32 v19, v3, v10 :: v_dual_sub_f32 v10, v6, v12
	v_sub_f32_e32 v12, v13, v15
	v_add_co_u32 v40, vcc_lo, v0, v40
	v_sub_f32_e32 v15, v14, v5
	s_delay_alu instid0(VALU_DEP_4)
	v_fma_f32 v17, v6, 2.0, -v10
	v_sub_f32_e32 v9, v4, v2
	v_fma_f32 v22, v13, 2.0, -v12
	v_fma_f32 v13, v16, 2.0, -v7
	v_fma_f32 v23, v14, 2.0, -v15
	v_fmamk_f32 v2, v8, 0x3f3504f3, v18
	v_fma_f32 v14, v4, 2.0, -v9
	v_fmamk_f32 v4, v11, 0xbf3504f3, v20
	v_fma_f32 v21, v3, 2.0, -v19
	v_fmamk_f32 v3, v10, 0x3f3504f3, v19
	v_dual_sub_f32 v7, v15, v7 :: v_dual_fmac_f32 v2, 0x3f3504f3, v10
	s_delay_alu instid0(VALU_DEP_4) | instskip(NEXT) | instid1(VALU_DEP_4)
	v_fmac_f32_e32 v4, 0x3f3504f3, v17
	v_dual_fmamk_f32 v5, v17, 0xbf3504f3, v21 :: v_dual_add_f32 v6, v12, v9
	s_delay_alu instid0(VALU_DEP_4) | instskip(SKIP_1) | instid1(VALU_DEP_3)
	v_dual_fmac_f32 v3, 0xbf3504f3, v8 :: v_dual_sub_f32 v8, v22, v13
	v_sub_f32_e32 v9, v23, v14
	v_fmac_f32_e32 v5, 0xbf3504f3, v11
	v_add_co_ci_u32_e32 v41, vcc_lo, v1, v41, vcc_lo
	v_add_co_u32 v45, vcc_lo, v0, v45
	v_fma_f32 v11, v15, 2.0, -v7
	v_fma_f32 v14, v22, 2.0, -v8
	;; [unrolled: 1-line block ×5, first 2 shown]
	v_add_co_ci_u32_e32 v46, vcc_lo, v1, v46, vcc_lo
	v_fma_f32 v10, v12, 2.0, -v6
	v_fma_f32 v12, v18, 2.0, -v2
	;; [unrolled: 1-line block ×3, first 2 shown]
	v_add_co_u32 v0, vcc_lo, v0, v47
	v_add_co_ci_u32_e32 v1, vcc_lo, v1, v48, vcc_lo
	s_clause 0x7
	global_store_b64 v[24:25], v[14:15], off
	global_store_b64 v[32:33], v[16:17], off
	;; [unrolled: 1-line block ×8, first 2 shown]
.LBB0_20:
	s_nop 0
	s_sendmsg sendmsg(MSG_DEALLOC_VGPRS)
	s_endpgm
	.section	.rodata,"a",@progbits
	.p2align	6, 0x0
	.amdhsa_kernel fft_rtc_back_len104_factors_13_8_wgs_64_tpt_8_halfLds_sp_ip_CI_sbrr_dirReg
		.amdhsa_group_segment_fixed_size 0
		.amdhsa_private_segment_fixed_size 0
		.amdhsa_kernarg_size 88
		.amdhsa_user_sgpr_count 15
		.amdhsa_user_sgpr_dispatch_ptr 0
		.amdhsa_user_sgpr_queue_ptr 0
		.amdhsa_user_sgpr_kernarg_segment_ptr 1
		.amdhsa_user_sgpr_dispatch_id 0
		.amdhsa_user_sgpr_private_segment_size 0
		.amdhsa_wavefront_size32 1
		.amdhsa_uses_dynamic_stack 0
		.amdhsa_enable_private_segment 0
		.amdhsa_system_sgpr_workgroup_id_x 1
		.amdhsa_system_sgpr_workgroup_id_y 0
		.amdhsa_system_sgpr_workgroup_id_z 0
		.amdhsa_system_sgpr_workgroup_info 0
		.amdhsa_system_vgpr_workitem_id 0
		.amdhsa_next_free_vgpr 77
		.amdhsa_next_free_sgpr 23
		.amdhsa_reserve_vcc 1
		.amdhsa_float_round_mode_32 0
		.amdhsa_float_round_mode_16_64 0
		.amdhsa_float_denorm_mode_32 3
		.amdhsa_float_denorm_mode_16_64 3
		.amdhsa_dx10_clamp 1
		.amdhsa_ieee_mode 1
		.amdhsa_fp16_overflow 0
		.amdhsa_workgroup_processor_mode 1
		.amdhsa_memory_ordered 1
		.amdhsa_forward_progress 0
		.amdhsa_shared_vgpr_count 0
		.amdhsa_exception_fp_ieee_invalid_op 0
		.amdhsa_exception_fp_denorm_src 0
		.amdhsa_exception_fp_ieee_div_zero 0
		.amdhsa_exception_fp_ieee_overflow 0
		.amdhsa_exception_fp_ieee_underflow 0
		.amdhsa_exception_fp_ieee_inexact 0
		.amdhsa_exception_int_div_zero 0
	.end_amdhsa_kernel
	.text
.Lfunc_end0:
	.size	fft_rtc_back_len104_factors_13_8_wgs_64_tpt_8_halfLds_sp_ip_CI_sbrr_dirReg, .Lfunc_end0-fft_rtc_back_len104_factors_13_8_wgs_64_tpt_8_halfLds_sp_ip_CI_sbrr_dirReg
                                        ; -- End function
	.section	.AMDGPU.csdata,"",@progbits
; Kernel info:
; codeLenInByte = 7928
; NumSgprs: 25
; NumVgprs: 77
; ScratchSize: 0
; MemoryBound: 0
; FloatMode: 240
; IeeeMode: 1
; LDSByteSize: 0 bytes/workgroup (compile time only)
; SGPRBlocks: 3
; VGPRBlocks: 9
; NumSGPRsForWavesPerEU: 25
; NumVGPRsForWavesPerEU: 77
; Occupancy: 16
; WaveLimiterHint : 1
; COMPUTE_PGM_RSRC2:SCRATCH_EN: 0
; COMPUTE_PGM_RSRC2:USER_SGPR: 15
; COMPUTE_PGM_RSRC2:TRAP_HANDLER: 0
; COMPUTE_PGM_RSRC2:TGID_X_EN: 1
; COMPUTE_PGM_RSRC2:TGID_Y_EN: 0
; COMPUTE_PGM_RSRC2:TGID_Z_EN: 0
; COMPUTE_PGM_RSRC2:TIDIG_COMP_CNT: 0
	.text
	.p2alignl 7, 3214868480
	.fill 96, 4, 3214868480
	.type	__hip_cuid_1b6a1e63fc57bce1,@object ; @__hip_cuid_1b6a1e63fc57bce1
	.section	.bss,"aw",@nobits
	.globl	__hip_cuid_1b6a1e63fc57bce1
__hip_cuid_1b6a1e63fc57bce1:
	.byte	0                               ; 0x0
	.size	__hip_cuid_1b6a1e63fc57bce1, 1

	.ident	"AMD clang version 19.0.0git (https://github.com/RadeonOpenCompute/llvm-project roc-6.4.0 25133 c7fe45cf4b819c5991fe208aaa96edf142730f1d)"
	.section	".note.GNU-stack","",@progbits
	.addrsig
	.addrsig_sym __hip_cuid_1b6a1e63fc57bce1
	.amdgpu_metadata
---
amdhsa.kernels:
  - .args:
      - .actual_access:  read_only
        .address_space:  global
        .offset:         0
        .size:           8
        .value_kind:     global_buffer
      - .offset:         8
        .size:           8
        .value_kind:     by_value
      - .actual_access:  read_only
        .address_space:  global
        .offset:         16
        .size:           8
        .value_kind:     global_buffer
      - .actual_access:  read_only
        .address_space:  global
        .offset:         24
        .size:           8
        .value_kind:     global_buffer
      - .offset:         32
        .size:           8
        .value_kind:     by_value
      - .actual_access:  read_only
        .address_space:  global
        .offset:         40
        .size:           8
        .value_kind:     global_buffer
      - .actual_access:  read_only
        .address_space:  global
        .offset:         48
        .size:           8
        .value_kind:     global_buffer
      - .offset:         56
        .size:           4
        .value_kind:     by_value
      - .actual_access:  read_only
        .address_space:  global
        .offset:         64
        .size:           8
        .value_kind:     global_buffer
      - .actual_access:  read_only
        .address_space:  global
        .offset:         72
        .size:           8
        .value_kind:     global_buffer
      - .address_space:  global
        .offset:         80
        .size:           8
        .value_kind:     global_buffer
    .group_segment_fixed_size: 0
    .kernarg_segment_align: 8
    .kernarg_segment_size: 88
    .language:       OpenCL C
    .language_version:
      - 2
      - 0
    .max_flat_workgroup_size: 64
    .name:           fft_rtc_back_len104_factors_13_8_wgs_64_tpt_8_halfLds_sp_ip_CI_sbrr_dirReg
    .private_segment_fixed_size: 0
    .sgpr_count:     25
    .sgpr_spill_count: 0
    .symbol:         fft_rtc_back_len104_factors_13_8_wgs_64_tpt_8_halfLds_sp_ip_CI_sbrr_dirReg.kd
    .uniform_work_group_size: 1
    .uses_dynamic_stack: false
    .vgpr_count:     77
    .vgpr_spill_count: 0
    .wavefront_size: 32
    .workgroup_processor_mode: 1
amdhsa.target:   amdgcn-amd-amdhsa--gfx1100
amdhsa.version:
  - 1
  - 2
...

	.end_amdgpu_metadata
